;; amdgpu-corpus repo=ROCm/aiter kind=compiled arch=gfx950 opt=O3
	.amdgcn_target "amdgcn-amd-amdhsa--gfx950"
	.amdhsa_code_object_version 6
	.text
	.protected	_Z22mma_step_k_bf16_kernelPKDF16bS0_PDF16biii ; -- Begin function _Z22mma_step_k_bf16_kernelPKDF16bS0_PDF16biii
	.globl	_Z22mma_step_k_bf16_kernelPKDF16bS0_PDF16biii
	.p2align	8
	.type	_Z22mma_step_k_bf16_kernelPKDF16bS0_PDF16biii,@function
_Z22mma_step_k_bf16_kernelPKDF16bS0_PDF16biii: ; @_Z22mma_step_k_bf16_kernelPKDF16bS0_PDF16biii
; %bb.0:
	s_load_dwordx4 s[8:11], s[0:1], 0x0
	s_load_dwordx2 s[12:13], s[0:1], 0x10
	s_load_dwordx4 s[4:7], s[0:1], 0x18
	s_waitcnt lgkmcnt(0)
	s_lshl_b32 s7, s2, 5
	s_lshl_b32 s14, s3, 5
	v_and_b32_e32 v44, 31, v0
	v_lshrrev_b32_e32 v0, 2, v0
	s_mul_i32 s0, s4, s7
	s_ashr_i32 s1, s0, 31
	s_lshl_b64 s[0:1], s[0:1], 1
	s_add_u32 s0, s8, s0
	s_mul_i32 s8, s5, s14
	s_addc_u32 s1, s9, s1
	s_ashr_i32 s9, s8, 31
	s_and_b32 s1, s1, 0xffff
	s_lshl_b64 s[8:9], s[8:9], 1
	s_add_u32 s8, s10, s8
	v_and_b32_e32 v45, 8, v0
	v_mul_lo_u32 v0, s5, v44
	s_mov_b32 s3, 0x20000
	s_mov_b32 s2, -1
	s_addc_u32 s5, s11, s9
	s_and_b32 s9, s5, 0xffff
	s_mov_b32 s10, s2
	s_mov_b32 s11, s3
	v_add_lshl_u32 v46, v0, v45, 1
	buffer_load_dwordx4 v[0:3], v46, s[8:11], 0 offen
	v_mul_lo_u32 v4, s4, v44
	v_add_lshl_u32 v47, v4, v45, 1
	buffer_load_dwordx4 v[4:7], v47, s[0:3], 0 offen
	buffer_load_dwordx4 v[16:19], v46, s[8:11], 0 offen offset:32
	buffer_load_dwordx4 v[20:23], v47, s[0:3], 0 offen offset:32
	;; [unrolled: 1-line block ×7, first 2 shown]
	s_waitcnt vmcnt(7)
	v_mfma_f32_32x32x16_bf16 v[0:15], v[0:3], v[4:7], 0
	s_waitcnt vmcnt(5)
	v_mfma_f32_32x32x16_bf16 v[0:15], v[16:19], v[20:23], v[0:15]
	buffer_load_dwordx4 v[16:19], v47, s[0:3], 0 offen offset:128
	buffer_load_dwordx4 v[20:23], v46, s[8:11], 0 offen offset:160
	s_waitcnt vmcnt(5)
	v_mfma_f32_32x32x16_bf16 v[0:15], v[24:27], v[28:31], v[0:15]
	buffer_load_dwordx4 v[24:27], v47, s[0:3], 0 offen offset:160
	buffer_load_dwordx4 v[28:31], v46, s[8:11], 0 offen offset:192
	s_waitcnt vmcnt(5)
	v_mfma_f32_32x32x16_bf16 v[0:15], v[32:35], v[36:39], v[0:15]
	buffer_load_dwordx4 v[32:35], v47, s[0:3], 0 offen offset:192
	buffer_load_dwordx4 v[36:39], v46, s[8:11], 0 offen offset:224
	s_waitcnt vmcnt(5)
	v_mfma_f32_32x32x16_bf16 v[0:15], v[40:43], v[16:19], v[0:15]
	buffer_load_dwordx4 v[16:19], v47, s[0:3], 0 offen offset:224
	s_mul_i32 s0, s6, s7
	s_ashr_i32 s1, s0, 31
	s_lshl_b64 s[0:1], s[0:1], 1
	s_add_u32 s4, s12, s0
	s_addc_u32 s5, s13, s1
	s_ashr_i32 s15, s14, 31
	s_waitcnt vmcnt(4)
	v_mfma_f32_32x32x16_bf16 v[0:15], v[20:23], v[24:27], v[0:15]
	s_lshl_b64 s[0:1], s[14:15], 1
	s_add_u32 s0, s4, s0
	v_mul_lo_u32 v20, v44, s6
	s_addc_u32 s1, s5, s1
	v_lshl_add_u32 v20, v20, 1, v45
	s_and_b32 s1, s1, 0xffff
	s_waitcnt vmcnt(2)
	v_mfma_f32_32x32x16_bf16 v[0:15], v[28:31], v[32:35], v[0:15]
	s_waitcnt vmcnt(0)
	v_mfma_f32_32x32x16_bf16 v[0:15], v[36:39], v[16:19], v[0:15]
	s_nop 11
	v_cvt_pk_bf16_f32 v3, v2, v3
	v_cvt_pk_bf16_f32 v2, v0, v1
	;; [unrolled: 1-line block ×8, first 2 shown]
	buffer_store_dwordx2 v[2:3], v20, s[0:3], 0 offen
	buffer_store_dwordx2 v[0:1], v20, s[0:3], 0 offen offset:16
	buffer_store_dwordx2 v[4:5], v20, s[0:3], 0 offen offset:32
	;; [unrolled: 1-line block ×3, first 2 shown]
	s_endpgm
	.section	.rodata,"a",@progbits
	.p2align	6, 0x0
	.amdhsa_kernel _Z22mma_step_k_bf16_kernelPKDF16bS0_PDF16biii
		.amdhsa_group_segment_fixed_size 0
		.amdhsa_private_segment_fixed_size 0
		.amdhsa_kernarg_size 36
		.amdhsa_user_sgpr_count 2
		.amdhsa_user_sgpr_dispatch_ptr 0
		.amdhsa_user_sgpr_queue_ptr 0
		.amdhsa_user_sgpr_kernarg_segment_ptr 1
		.amdhsa_user_sgpr_dispatch_id 0
		.amdhsa_user_sgpr_kernarg_preload_length 0
		.amdhsa_user_sgpr_kernarg_preload_offset 0
		.amdhsa_user_sgpr_private_segment_size 0
		.amdhsa_uses_dynamic_stack 0
		.amdhsa_enable_private_segment 0
		.amdhsa_system_sgpr_workgroup_id_x 1
		.amdhsa_system_sgpr_workgroup_id_y 1
		.amdhsa_system_sgpr_workgroup_id_z 0
		.amdhsa_system_sgpr_workgroup_info 0
		.amdhsa_system_vgpr_workitem_id 0
		.amdhsa_next_free_vgpr 48
		.amdhsa_next_free_sgpr 16
		.amdhsa_accum_offset 48
		.amdhsa_reserve_vcc 0
		.amdhsa_float_round_mode_32 0
		.amdhsa_float_round_mode_16_64 0
		.amdhsa_float_denorm_mode_32 3
		.amdhsa_float_denorm_mode_16_64 3
		.amdhsa_dx10_clamp 1
		.amdhsa_ieee_mode 1
		.amdhsa_fp16_overflow 0
		.amdhsa_tg_split 0
		.amdhsa_exception_fp_ieee_invalid_op 0
		.amdhsa_exception_fp_denorm_src 0
		.amdhsa_exception_fp_ieee_div_zero 0
		.amdhsa_exception_fp_ieee_overflow 0
		.amdhsa_exception_fp_ieee_underflow 0
		.amdhsa_exception_fp_ieee_inexact 0
		.amdhsa_exception_int_div_zero 0
	.end_amdhsa_kernel
	.text
.Lfunc_end0:
	.size	_Z22mma_step_k_bf16_kernelPKDF16bS0_PDF16biii, .Lfunc_end0-_Z22mma_step_k_bf16_kernelPKDF16bS0_PDF16biii
                                        ; -- End function
	.set _Z22mma_step_k_bf16_kernelPKDF16bS0_PDF16biii.num_vgpr, 48
	.set _Z22mma_step_k_bf16_kernelPKDF16bS0_PDF16biii.num_agpr, 0
	.set _Z22mma_step_k_bf16_kernelPKDF16bS0_PDF16biii.numbered_sgpr, 16
	.set _Z22mma_step_k_bf16_kernelPKDF16bS0_PDF16biii.num_named_barrier, 0
	.set _Z22mma_step_k_bf16_kernelPKDF16bS0_PDF16biii.private_seg_size, 0
	.set _Z22mma_step_k_bf16_kernelPKDF16bS0_PDF16biii.uses_vcc, 0
	.set _Z22mma_step_k_bf16_kernelPKDF16bS0_PDF16biii.uses_flat_scratch, 0
	.set _Z22mma_step_k_bf16_kernelPKDF16bS0_PDF16biii.has_dyn_sized_stack, 0
	.set _Z22mma_step_k_bf16_kernelPKDF16bS0_PDF16biii.has_recursion, 0
	.set _Z22mma_step_k_bf16_kernelPKDF16bS0_PDF16biii.has_indirect_call, 0
	.section	.AMDGPU.csdata,"",@progbits
; Kernel info:
; codeLenInByte = 544
; TotalNumSgprs: 22
; NumVgprs: 48
; NumAgprs: 0
; TotalNumVgprs: 48
; ScratchSize: 0
; MemoryBound: 0
; FloatMode: 240
; IeeeMode: 1
; LDSByteSize: 0 bytes/workgroup (compile time only)
; SGPRBlocks: 2
; VGPRBlocks: 5
; NumSGPRsForWavesPerEU: 22
; NumVGPRsForWavesPerEU: 48
; AccumOffset: 48
; Occupancy: 8
; WaveLimiterHint : 0
; COMPUTE_PGM_RSRC2:SCRATCH_EN: 0
; COMPUTE_PGM_RSRC2:USER_SGPR: 2
; COMPUTE_PGM_RSRC2:TRAP_HANDLER: 0
; COMPUTE_PGM_RSRC2:TGID_X_EN: 1
; COMPUTE_PGM_RSRC2:TGID_Y_EN: 1
; COMPUTE_PGM_RSRC2:TGID_Z_EN: 0
; COMPUTE_PGM_RSRC2:TIDIG_COMP_CNT: 0
; COMPUTE_PGM_RSRC3_GFX90A:ACCUM_OFFSET: 11
; COMPUTE_PGM_RSRC3_GFX90A:TG_SPLIT: 0
	.text
	.p2alignl 6, 3212836864
	.fill 256, 4, 3212836864
	.section	.AMDGPU.gpr_maximums,"",@progbits
	.set amdgpu.max_num_vgpr, 0
	.set amdgpu.max_num_agpr, 0
	.set amdgpu.max_num_sgpr, 0
	.text
	.type	__hip_cuid_798ba8e7160dbcde,@object ; @__hip_cuid_798ba8e7160dbcde
	.section	.bss,"aw",@nobits
	.globl	__hip_cuid_798ba8e7160dbcde
__hip_cuid_798ba8e7160dbcde:
	.byte	0                               ; 0x0
	.size	__hip_cuid_798ba8e7160dbcde, 1

	.ident	"AMD clang version 22.0.0git (https://github.com/RadeonOpenCompute/llvm-project roc-7.2.4 26084 f58b06dce1f9c15707c5f808fd002e18c2accf7e)"
	.section	".note.GNU-stack","",@progbits
	.addrsig
	.addrsig_sym __hip_cuid_798ba8e7160dbcde
	.amdgpu_metadata
---
amdhsa.kernels:
  - .agpr_count:     0
    .args:
      - .actual_access:  read_only
        .address_space:  global
        .offset:         0
        .size:           8
        .value_kind:     global_buffer
      - .actual_access:  read_only
        .address_space:  global
        .offset:         8
        .size:           8
        .value_kind:     global_buffer
      - .actual_access:  write_only
        .address_space:  global
        .offset:         16
        .size:           8
        .value_kind:     global_buffer
      - .offset:         24
        .size:           4
        .value_kind:     by_value
      - .offset:         28
        .size:           4
        .value_kind:     by_value
      - .offset:         32
        .size:           4
        .value_kind:     by_value
    .group_segment_fixed_size: 0
    .kernarg_segment_align: 8
    .kernarg_segment_size: 36
    .language:       OpenCL C
    .language_version:
      - 2
      - 0
    .max_flat_workgroup_size: 1024
    .name:           _Z22mma_step_k_bf16_kernelPKDF16bS0_PDF16biii
    .private_segment_fixed_size: 0
    .sgpr_count:     22
    .sgpr_spill_count: 0
    .symbol:         _Z22mma_step_k_bf16_kernelPKDF16bS0_PDF16biii.kd
    .uniform_work_group_size: 1
    .uses_dynamic_stack: false
    .vgpr_count:     48
    .vgpr_spill_count: 0
    .wavefront_size: 64
amdhsa.target:   amdgcn-amd-amdhsa--gfx950
amdhsa.version:
  - 1
  - 2
...

	.end_amdgpu_metadata
